;; amdgpu-corpus repo=ROCm/rocFFT kind=compiled arch=gfx1030 opt=O3
	.text
	.amdgcn_target "amdgcn-amd-amdhsa--gfx1030"
	.amdhsa_code_object_version 6
	.protected	fft_rtc_fwd_len104_factors_13_8_wgs_64_tpt_8_halfLds_dp_ip_CI_unitstride_sbrr_R2C_dirReg ; -- Begin function fft_rtc_fwd_len104_factors_13_8_wgs_64_tpt_8_halfLds_dp_ip_CI_unitstride_sbrr_R2C_dirReg
	.globl	fft_rtc_fwd_len104_factors_13_8_wgs_64_tpt_8_halfLds_dp_ip_CI_unitstride_sbrr_R2C_dirReg
	.p2align	8
	.type	fft_rtc_fwd_len104_factors_13_8_wgs_64_tpt_8_halfLds_dp_ip_CI_unitstride_sbrr_R2C_dirReg,@function
fft_rtc_fwd_len104_factors_13_8_wgs_64_tpt_8_halfLds_dp_ip_CI_unitstride_sbrr_R2C_dirReg: ; @fft_rtc_fwd_len104_factors_13_8_wgs_64_tpt_8_halfLds_dp_ip_CI_unitstride_sbrr_R2C_dirReg
; %bb.0:
	s_clause 0x2
	s_load_dwordx4 s[8:11], s[4:5], 0x0
	s_load_dwordx2 s[2:3], s[4:5], 0x50
	s_load_dwordx2 s[12:13], s[4:5], 0x18
	v_lshrrev_b32_e32 v9, 3, v0
	v_mov_b32_e32 v3, 0
	v_mov_b32_e32 v1, 0
	;; [unrolled: 1-line block ×3, first 2 shown]
	v_lshl_or_b32 v5, s6, 3, v9
	v_mov_b32_e32 v6, v3
	s_waitcnt lgkmcnt(0)
	v_cmp_lt_u64_e64 s0, s[10:11], 2
	s_and_b32 vcc_lo, exec_lo, s0
	s_cbranch_vccnz .LBB0_8
; %bb.1:
	s_load_dwordx2 s[0:1], s[4:5], 0x10
	v_mov_b32_e32 v1, 0
	s_add_u32 s6, s12, 8
	v_mov_b32_e32 v2, 0
	s_addc_u32 s7, s13, 0
	s_mov_b64 s[16:17], 1
	s_waitcnt lgkmcnt(0)
	s_add_u32 s14, s0, 8
	s_addc_u32 s15, s1, 0
.LBB0_2:                                ; =>This Inner Loop Header: Depth=1
	s_load_dwordx2 s[18:19], s[14:15], 0x0
                                        ; implicit-def: $vgpr7_vgpr8
	s_mov_b32 s0, exec_lo
	s_waitcnt lgkmcnt(0)
	v_or_b32_e32 v4, s19, v6
	v_cmpx_ne_u64_e32 0, v[3:4]
	s_xor_b32 s1, exec_lo, s0
	s_cbranch_execz .LBB0_4
; %bb.3:                                ;   in Loop: Header=BB0_2 Depth=1
	v_cvt_f32_u32_e32 v4, s18
	v_cvt_f32_u32_e32 v7, s19
	s_sub_u32 s0, 0, s18
	s_subb_u32 s20, 0, s19
	v_fmac_f32_e32 v4, 0x4f800000, v7
	v_rcp_f32_e32 v4, v4
	v_mul_f32_e32 v4, 0x5f7ffffc, v4
	v_mul_f32_e32 v7, 0x2f800000, v4
	v_trunc_f32_e32 v7, v7
	v_fmac_f32_e32 v4, 0xcf800000, v7
	v_cvt_u32_f32_e32 v7, v7
	v_cvt_u32_f32_e32 v4, v4
	v_mul_lo_u32 v8, s0, v7
	v_mul_hi_u32 v10, s0, v4
	v_mul_lo_u32 v11, s20, v4
	v_add_nc_u32_e32 v8, v10, v8
	v_mul_lo_u32 v10, s0, v4
	v_add_nc_u32_e32 v8, v8, v11
	v_mul_hi_u32 v11, v4, v10
	v_mul_lo_u32 v12, v4, v8
	v_mul_hi_u32 v13, v4, v8
	v_mul_hi_u32 v14, v7, v10
	v_mul_lo_u32 v10, v7, v10
	v_mul_hi_u32 v15, v7, v8
	v_mul_lo_u32 v8, v7, v8
	v_add_co_u32 v11, vcc_lo, v11, v12
	v_add_co_ci_u32_e32 v12, vcc_lo, 0, v13, vcc_lo
	v_add_co_u32 v10, vcc_lo, v11, v10
	v_add_co_ci_u32_e32 v10, vcc_lo, v12, v14, vcc_lo
	v_add_co_ci_u32_e32 v11, vcc_lo, 0, v15, vcc_lo
	v_add_co_u32 v8, vcc_lo, v10, v8
	v_add_co_ci_u32_e32 v10, vcc_lo, 0, v11, vcc_lo
	v_add_co_u32 v4, vcc_lo, v4, v8
	v_add_co_ci_u32_e32 v7, vcc_lo, v7, v10, vcc_lo
	v_mul_hi_u32 v8, s0, v4
	v_mul_lo_u32 v11, s20, v4
	v_mul_lo_u32 v10, s0, v7
	v_add_nc_u32_e32 v8, v8, v10
	v_mul_lo_u32 v10, s0, v4
	v_add_nc_u32_e32 v8, v8, v11
	v_mul_hi_u32 v11, v4, v10
	v_mul_lo_u32 v12, v4, v8
	v_mul_hi_u32 v13, v4, v8
	v_mul_hi_u32 v14, v7, v10
	v_mul_lo_u32 v10, v7, v10
	v_mul_hi_u32 v15, v7, v8
	v_mul_lo_u32 v8, v7, v8
	v_add_co_u32 v11, vcc_lo, v11, v12
	v_add_co_ci_u32_e32 v12, vcc_lo, 0, v13, vcc_lo
	v_add_co_u32 v10, vcc_lo, v11, v10
	v_add_co_ci_u32_e32 v10, vcc_lo, v12, v14, vcc_lo
	v_add_co_ci_u32_e32 v11, vcc_lo, 0, v15, vcc_lo
	v_add_co_u32 v8, vcc_lo, v10, v8
	v_add_co_ci_u32_e32 v10, vcc_lo, 0, v11, vcc_lo
	v_add_co_u32 v4, vcc_lo, v4, v8
	v_add_co_ci_u32_e32 v12, vcc_lo, v7, v10, vcc_lo
	v_mul_hi_u32 v14, v5, v4
	v_mad_u64_u32 v[10:11], null, v6, v4, 0
	v_mad_u64_u32 v[7:8], null, v5, v12, 0
	;; [unrolled: 1-line block ×3, first 2 shown]
	v_add_co_u32 v4, vcc_lo, v14, v7
	v_add_co_ci_u32_e32 v7, vcc_lo, 0, v8, vcc_lo
	v_add_co_u32 v4, vcc_lo, v4, v10
	v_add_co_ci_u32_e32 v4, vcc_lo, v7, v11, vcc_lo
	v_add_co_ci_u32_e32 v7, vcc_lo, 0, v13, vcc_lo
	v_add_co_u32 v4, vcc_lo, v4, v12
	v_add_co_ci_u32_e32 v10, vcc_lo, 0, v7, vcc_lo
	v_mul_lo_u32 v11, s19, v4
	v_mad_u64_u32 v[7:8], null, s18, v4, 0
	v_mul_lo_u32 v12, s18, v10
	v_sub_co_u32 v7, vcc_lo, v5, v7
	v_add3_u32 v8, v8, v12, v11
	v_sub_nc_u32_e32 v11, v6, v8
	v_subrev_co_ci_u32_e64 v11, s0, s19, v11, vcc_lo
	v_add_co_u32 v12, s0, v4, 2
	v_add_co_ci_u32_e64 v13, s0, 0, v10, s0
	v_sub_co_u32 v14, s0, v7, s18
	v_sub_co_ci_u32_e32 v8, vcc_lo, v6, v8, vcc_lo
	v_subrev_co_ci_u32_e64 v11, s0, 0, v11, s0
	v_cmp_le_u32_e32 vcc_lo, s18, v14
	v_cmp_eq_u32_e64 s0, s19, v8
	v_cndmask_b32_e64 v14, 0, -1, vcc_lo
	v_cmp_le_u32_e32 vcc_lo, s19, v11
	v_cndmask_b32_e64 v15, 0, -1, vcc_lo
	v_cmp_le_u32_e32 vcc_lo, s18, v7
	;; [unrolled: 2-line block ×3, first 2 shown]
	v_cndmask_b32_e64 v16, 0, -1, vcc_lo
	v_cmp_eq_u32_e32 vcc_lo, s19, v11
	v_cndmask_b32_e64 v7, v16, v7, s0
	v_cndmask_b32_e32 v11, v15, v14, vcc_lo
	v_add_co_u32 v14, vcc_lo, v4, 1
	v_add_co_ci_u32_e32 v15, vcc_lo, 0, v10, vcc_lo
	v_cmp_ne_u32_e32 vcc_lo, 0, v11
	v_cndmask_b32_e32 v8, v15, v13, vcc_lo
	v_cndmask_b32_e32 v11, v14, v12, vcc_lo
	v_cmp_ne_u32_e32 vcc_lo, 0, v7
	v_cndmask_b32_e32 v8, v10, v8, vcc_lo
	v_cndmask_b32_e32 v7, v4, v11, vcc_lo
.LBB0_4:                                ;   in Loop: Header=BB0_2 Depth=1
	s_andn2_saveexec_b32 s0, s1
	s_cbranch_execz .LBB0_6
; %bb.5:                                ;   in Loop: Header=BB0_2 Depth=1
	v_cvt_f32_u32_e32 v4, s18
	s_sub_i32 s1, 0, s18
	v_rcp_iflag_f32_e32 v4, v4
	v_mul_f32_e32 v4, 0x4f7ffffe, v4
	v_cvt_u32_f32_e32 v4, v4
	v_mul_lo_u32 v7, s1, v4
	v_mul_hi_u32 v7, v4, v7
	v_add_nc_u32_e32 v4, v4, v7
	v_mul_hi_u32 v4, v5, v4
	v_mul_lo_u32 v7, v4, s18
	v_add_nc_u32_e32 v8, 1, v4
	v_sub_nc_u32_e32 v7, v5, v7
	v_subrev_nc_u32_e32 v10, s18, v7
	v_cmp_le_u32_e32 vcc_lo, s18, v7
	v_cndmask_b32_e32 v7, v7, v10, vcc_lo
	v_cndmask_b32_e32 v4, v4, v8, vcc_lo
	v_cmp_le_u32_e32 vcc_lo, s18, v7
	v_add_nc_u32_e32 v8, 1, v4
	v_cndmask_b32_e32 v7, v4, v8, vcc_lo
	v_mov_b32_e32 v8, v3
.LBB0_6:                                ;   in Loop: Header=BB0_2 Depth=1
	s_or_b32 exec_lo, exec_lo, s0
	s_load_dwordx2 s[0:1], s[6:7], 0x0
	v_mul_lo_u32 v4, v8, s18
	v_mul_lo_u32 v12, v7, s19
	v_mad_u64_u32 v[10:11], null, v7, s18, 0
	s_add_u32 s16, s16, 1
	s_addc_u32 s17, s17, 0
	s_add_u32 s6, s6, 8
	s_addc_u32 s7, s7, 0
	;; [unrolled: 2-line block ×3, first 2 shown]
	v_add3_u32 v4, v11, v12, v4
	v_sub_co_u32 v5, vcc_lo, v5, v10
	v_sub_co_ci_u32_e32 v4, vcc_lo, v6, v4, vcc_lo
	s_waitcnt lgkmcnt(0)
	v_mul_lo_u32 v6, s1, v5
	v_mul_lo_u32 v4, s0, v4
	v_mad_u64_u32 v[1:2], null, s0, v5, v[1:2]
	v_cmp_ge_u64_e64 s0, s[16:17], s[10:11]
	s_and_b32 vcc_lo, exec_lo, s0
	v_add3_u32 v2, v6, v2, v4
	s_cbranch_vccnz .LBB0_9
; %bb.7:                                ;   in Loop: Header=BB0_2 Depth=1
	v_mov_b32_e32 v5, v7
	v_mov_b32_e32 v6, v8
	s_branch .LBB0_2
.LBB0_8:
	v_mov_b32_e32 v8, v6
	v_mov_b32_e32 v7, v5
.LBB0_9:
	s_lshl_b64 s[0:1], s[10:11], 3
	v_and_b32_e32 v64, 7, v0
	s_add_u32 s0, s12, s0
	s_addc_u32 s1, s13, s1
	s_load_dwordx2 s[0:1], s[0:1], 0x0
	s_load_dwordx2 s[4:5], s[4:5], 0x20
	v_or_b32_e32 v68, 8, v64
	s_waitcnt lgkmcnt(0)
	v_mul_lo_u32 v3, s0, v8
	v_mul_lo_u32 v4, s1, v7
	v_mad_u64_u32 v[1:2], null, s0, v7, v[1:2]
	v_cmp_gt_u64_e32 vcc_lo, s[4:5], v[7:8]
	v_cmp_le_u64_e64 s0, s[4:5], v[7:8]
	v_add3_u32 v2, v4, v2, v3
	s_and_saveexec_b32 s1, s0
	s_xor_b32 s0, exec_lo, s1
; %bb.10:
	v_or_b32_e32 v68, 8, v64
; %bb.11:
	s_or_saveexec_b32 s1, s0
	v_mul_u32_u24_e32 v0, 0x69, v9
	v_lshlrev_b64 v[66:67], 4, v[1:2]
	v_lshlrev_b32_e32 v65, 4, v64
	v_lshlrev_b32_e32 v79, 4, v0
	s_xor_b32 exec_lo, exec_lo, s1
	s_cbranch_execz .LBB0_13
; %bb.12:
	v_add_co_u32 v0, s0, s2, v66
	v_add_co_ci_u32_e64 v1, s0, s3, v67, s0
	v_add3_u32 v52, 0, v79, v65
	v_add_co_u32 v48, s0, v0, v65
	v_add_co_ci_u32_e64 v49, s0, 0, v1, s0
	s_clause 0xc
	global_load_dwordx4 v[0:3], v[48:49], off
	global_load_dwordx4 v[4:7], v[48:49], off offset:128
	global_load_dwordx4 v[8:11], v[48:49], off offset:256
	;; [unrolled: 1-line block ×12, first 2 shown]
	s_waitcnt vmcnt(12)
	ds_write_b128 v52, v[0:3]
	s_waitcnt vmcnt(11)
	ds_write_b128 v52, v[4:7] offset:128
	s_waitcnt vmcnt(10)
	ds_write_b128 v52, v[8:11] offset:256
	;; [unrolled: 2-line block ×12, first 2 shown]
.LBB0_13:
	s_or_b32 exec_lo, exec_lo, s1
	v_add_nc_u32_e32 v78, 0, v79
	v_add3_u32 v80, 0, v65, v79
	s_waitcnt lgkmcnt(0)
	s_barrier
	buffer_gl0_inv
	v_add_nc_u32_e32 v77, v78, v65
	s_mov_b32 s1, 0xbfddbe06
	s_mov_b32 s0, 0x4267c47c
	;; [unrolled: 1-line block ×3, first 2 shown]
	ds_read_b128 v[8:11], v80 offset:128
	ds_read_b128 v[0:3], v77
	ds_read_b128 v[12:15], v80 offset:256
	ds_read_b128 v[4:7], v80 offset:1536
	;; [unrolled: 1-line block ×6, first 2 shown]
	s_mov_b32 s4, 0xe00740e9
	s_mov_b32 s7, 0xbfea55e2
	s_mov_b32 s5, 0x3fec55a7
	ds_read_b128 v[36:39], v80 offset:640
	ds_read_b128 v[89:92], v80 offset:1152
	s_mov_b32 s24, 0x66966769
	s_mov_b32 s10, 0x1ea71119
	;; [unrolled: 1-line block ×4, first 2 shown]
	ds_read_b128 v[93:96], v80 offset:1024
	s_mov_b32 s12, 0x2ef20147
	s_mov_b32 s16, 0xebaa3ed8
	;; [unrolled: 1-line block ×6, first 2 shown]
	s_waitcnt lgkmcnt(7)
	v_add_f64 v[54:55], v[10:11], -v[6:7]
	v_add_f64 v[16:17], v[0:1], v[8:9]
	v_add_f64 v[18:19], v[2:3], v[10:11]
	v_add_f64 v[69:70], v[8:9], -v[4:5]
	s_waitcnt lgkmcnt(5)
	v_add_f64 v[34:35], v[14:15], -v[83:84]
	v_add_f64 v[32:33], v[12:13], -v[81:82]
	v_add_f64 v[101:102], v[8:9], v[4:5]
	v_add_f64 v[103:104], v[10:11], v[6:7]
	s_waitcnt lgkmcnt(4)
	v_add_f64 v[10:11], v[20:21], -v[85:86]
	v_add_f64 v[8:9], v[12:13], v[81:82]
	s_waitcnt lgkmcnt(1)
	v_add_f64 v[52:53], v[28:29], -v[89:90]
	v_add_f64 v[56:57], v[22:23], v[87:88]
	v_add_f64 v[48:49], v[30:31], v[91:92]
	s_waitcnt lgkmcnt(0)
	v_add_f64 v[50:51], v[38:39], -v[95:96]
	s_mov_b32 s18, 0xb2365da1
	s_mov_b32 s21, 0xbfe5384d
	;; [unrolled: 1-line block ×8, first 2 shown]
	v_mul_f64 v[105:106], v[54:55], s[0:1]
	v_add_f64 v[16:17], v[16:17], v[12:13]
	v_add_f64 v[18:19], v[18:19], v[14:15]
	v_mul_f64 v[107:108], v[69:70], s[0:1]
	v_mul_f64 v[24:25], v[34:35], s[6:7]
	v_add_f64 v[14:15], v[14:15], v[83:84]
	v_add_f64 v[12:13], v[20:21], v[85:86]
	v_mul_f64 v[121:122], v[54:55], s[12:13]
	v_mul_f64 v[71:72], v[10:11], s[24:25]
	;; [unrolled: 1-line block ×11, first 2 shown]
	s_mov_b32 s31, 0x3fedeba7
	s_mov_b32 s29, 0x3fe5384d
	s_mov_b32 s30, s12
	s_mov_b32 s28, s20
	v_fma_f64 v[44:45], v[101:102], s[4:5], -v[105:106]
	v_add_f64 v[26:27], v[16:17], v[20:21]
	v_add_f64 v[18:19], v[18:19], v[22:23]
	v_add_f64 v[16:17], v[22:23], -v[87:88]
	v_fma_f64 v[46:47], v[103:104], s[4:5], v[107:108]
	v_fma_f64 v[62:63], v[8:9], s[10:11], -v[24:25]
	ds_read_b128 v[20:23], v80 offset:768
	ds_read_b128 v[97:100], v80 offset:896
	v_fma_f64 v[119:120], v[56:57], s[16:17], v[71:72]
	v_fma_f64 v[105:106], v[101:102], s[4:5], v[105:106]
	v_fma_f64 v[145:146], v[101:102], s[18:19], -v[121:122]
	v_fma_f64 v[107:108], v[103:104], s[4:5], -v[107:108]
	v_fma_f64 v[147:148], v[103:104], s[16:17], v[129:130]
	v_fma_f64 v[149:150], v[101:102], s[14:15], -v[127:128]
	v_fma_f64 v[129:130], v[103:104], s[16:17], -v[129:130]
	s_mov_b32 s1, 0x3fddbe06
	s_waitcnt lgkmcnt(0)
	s_barrier
	buffer_gl0_inv
	v_add_f64 v[44:45], v[0:1], v[44:45]
	v_add_f64 v[40:41], v[26:27], v[28:29]
	;; [unrolled: 1-line block ×3, first 2 shown]
	v_mul_f64 v[26:27], v[32:33], s[6:7]
	v_add_f64 v[18:19], v[30:31], -v[91:92]
	v_mul_f64 v[73:74], v[16:17], s[24:25]
	v_add_f64 v[109:110], v[2:3], v[46:47]
	v_add_f64 v[46:47], v[36:37], -v[93:94]
	v_add_f64 v[30:31], v[22:23], v[99:100]
	v_add_f64 v[105:106], v[0:1], v[105:106]
	;; [unrolled: 1-line block ×10, first 2 shown]
	v_fma_f64 v[75:76], v[14:15], s[10:11], v[26:27]
	v_add_f64 v[40:41], v[28:29], v[89:90]
	v_mul_f64 v[58:59], v[18:19], s[12:13]
	v_fma_f64 v[115:116], v[12:13], s[16:17], -v[73:74]
	v_add_f64 v[36:37], v[36:37], v[93:94]
	v_add_f64 v[38:39], v[38:39], v[95:96]
	v_add_f64 v[44:45], v[22:23], -v[99:100]
	v_add_f64 v[28:29], v[20:21], v[97:98]
	v_mul_f64 v[62:63], v[50:51], s[20:21]
	v_add_f64 v[111:112], v[60:61], v[20:21]
	v_add_f64 v[113:114], v[42:43], v[22:23]
	v_mul_f64 v[60:61], v[52:53], s[12:13]
	v_add_f64 v[109:110], v[75:76], v[109:110]
	v_add_f64 v[42:43], v[20:21], -v[97:98]
	v_mul_f64 v[20:21], v[54:55], s[6:7]
	v_mul_f64 v[22:23], v[54:55], s[24:25]
	;; [unrolled: 1-line block ×4, first 2 shown]
	v_add_f64 v[97:98], v[111:112], v[97:98]
	v_add_f64 v[99:100], v[113:114], v[99:100]
	v_fma_f64 v[111:112], v[40:41], s[18:19], -v[58:59]
	v_add_f64 v[113:114], v[115:116], v[117:118]
	v_fma_f64 v[115:116], v[48:49], s[18:19], v[60:61]
	v_add_f64 v[109:110], v[119:120], v[109:110]
	v_mul_f64 v[117:118], v[69:70], s[20:21]
	v_mul_f64 v[119:120], v[69:70], s[26:27]
	;; [unrolled: 1-line block ×3, first 2 shown]
	v_fma_f64 v[141:142], v[101:102], s[10:11], -v[20:21]
	v_fma_f64 v[20:21], v[101:102], s[10:11], v[20:21]
	v_fma_f64 v[143:144], v[101:102], s[16:17], -v[22:23]
	v_fma_f64 v[22:23], v[101:102], s[16:17], v[22:23]
	v_add_f64 v[93:94], v[97:98], v[93:94]
	v_add_f64 v[95:96], v[99:100], v[95:96]
	v_fma_f64 v[97:98], v[101:102], s[18:19], v[121:122]
	v_fma_f64 v[99:100], v[36:37], s[22:23], -v[62:63]
	v_add_f64 v[111:112], v[111:112], v[113:114]
	v_fma_f64 v[113:114], v[38:39], s[22:23], v[75:76]
	v_add_f64 v[109:110], v[115:116], v[109:110]
	v_fma_f64 v[115:116], v[103:104], s[10:11], v[123:124]
	v_fma_f64 v[121:122], v[101:102], s[22:23], -v[125:126]
	v_fma_f64 v[123:124], v[103:104], s[10:11], -v[123:124]
	v_fma_f64 v[125:126], v[101:102], s[22:23], v[125:126]
	v_fma_f64 v[101:102], v[101:102], s[14:15], v[127:128]
	;; [unrolled: 1-line block ×3, first 2 shown]
	v_fma_f64 v[131:132], v[103:104], s[18:19], -v[131:132]
	v_fma_f64 v[151:152], v[103:104], s[22:23], v[117:118]
	v_fma_f64 v[117:118], v[103:104], s[22:23], -v[117:118]
	v_fma_f64 v[153:154], v[103:104], s[14:15], v[119:120]
	v_fma_f64 v[103:104], v[103:104], s[14:15], -v[119:120]
	v_mul_f64 v[119:120], v[16:17], s[26:27]
	v_add_f64 v[141:142], v[0:1], v[141:142]
	v_add_f64 v[155:156], v[0:1], v[20:21]
	;; [unrolled: 1-line block ×5, first 2 shown]
	v_fma_f64 v[93:94], v[28:29], s[14:15], -v[54:55]
	v_fma_f64 v[95:96], v[30:31], s[14:15], v[69:70]
	v_add_f64 v[99:100], v[99:100], v[111:112]
	v_fma_f64 v[111:112], v[8:9], s[18:19], -v[133:134]
	v_add_f64 v[109:110], v[113:114], v[109:110]
	v_fma_f64 v[113:114], v[14:15], s[18:19], v[135:136]
	v_add_f64 v[115:116], v[2:3], v[115:116]
	v_add_f64 v[123:124], v[2:3], v[123:124]
	;; [unrolled: 1-line block ×13, first 2 shown]
	v_mul_f64 v[101:102], v[10:11], s[26:27]
	v_fma_f64 v[103:104], v[8:9], s[18:19], v[133:134]
	v_fma_f64 v[133:134], v[14:15], s[18:19], -v[135:136]
	v_fma_f64 v[135:136], v[8:9], s[14:15], -v[137:138]
	v_add_f64 v[85:86], v[89:90], v[85:86]
	v_add_f64 v[87:88], v[91:92], v[87:88]
	v_mul_f64 v[89:90], v[16:17], s[30:31]
	v_mul_f64 v[91:92], v[10:11], s[30:31]
	v_add_f64 v[20:21], v[93:94], v[99:100]
	v_add_f64 v[22:23], v[95:96], v[109:110]
	v_mul_f64 v[93:94], v[18:19], s[28:29]
	v_fma_f64 v[95:96], v[14:15], s[14:15], v[139:140]
	v_add_f64 v[99:100], v[111:112], v[141:142]
	v_fma_f64 v[109:110], v[12:13], s[14:15], -v[119:120]
	v_add_f64 v[111:112], v[113:114], v[115:116]
	v_mul_f64 v[115:116], v[52:53], s[28:29]
	v_fma_f64 v[119:120], v[12:13], s[14:15], v[119:120]
	v_fma_f64 v[137:138], v[8:9], s[14:15], v[137:138]
	s_mov_b32 s27, 0x3fcea1e5
	v_fma_f64 v[54:55], v[28:29], s[14:15], v[54:55]
	v_fma_f64 v[69:70], v[30:31], s[14:15], -v[69:70]
	v_fma_f64 v[113:114], v[56:57], s[14:15], v[101:102]
	v_add_f64 v[103:104], v[103:104], v[155:156]
	v_add_f64 v[123:124], v[133:134], v[123:124]
	v_mul_f64 v[133:134], v[18:19], s[0:1]
	v_fma_f64 v[101:102], v[56:57], s[14:15], -v[101:102]
	v_add_f64 v[135:136], v[135:136], v[143:144]
	v_fma_f64 v[141:142], v[12:13], s[18:19], -v[89:90]
	v_add_f64 v[81:82], v[85:86], v[81:82]
	v_add_f64 v[83:84], v[87:88], v[83:84]
	v_mul_f64 v[85:86], v[52:53], s[0:1]
	v_fma_f64 v[87:88], v[14:15], s[14:15], -v[139:140]
	v_fma_f64 v[139:140], v[56:57], s[18:19], v[91:92]
	v_add_f64 v[95:96], v[95:96], v[147:148]
	v_mul_f64 v[143:144], v[34:35], s[28:29]
	v_add_f64 v[99:100], v[109:110], v[99:100]
	v_fma_f64 v[109:110], v[40:41], s[22:23], -v[93:94]
	v_fma_f64 v[93:94], v[40:41], s[22:23], v[93:94]
	v_add_f64 v[137:138], v[137:138], v[157:158]
	v_fma_f64 v[89:90], v[12:13], s[18:19], v[89:90]
	v_fma_f64 v[91:92], v[56:57], s[18:19], -v[91:92]
	v_add_f64 v[111:112], v[113:114], v[111:112]
	v_fma_f64 v[113:114], v[48:49], s[22:23], v[115:116]
	v_add_f64 v[103:104], v[119:120], v[103:104]
	v_mul_f64 v[119:120], v[32:33], s[28:29]
	s_mov_b32 s29, 0x3fefc445
	s_mov_b32 s28, s24
	v_add_f64 v[101:102], v[101:102], v[123:124]
	v_mul_f64 v[147:148], v[50:51], s[28:29]
	v_mul_f64 v[123:124], v[46:47], s[28:29]
	v_fma_f64 v[115:116], v[48:49], s[22:23], -v[115:116]
	v_add_f64 v[135:136], v[141:142], v[135:136]
	v_fma_f64 v[141:142], v[40:41], s[4:5], -v[133:134]
	v_add_f64 v[87:88], v[87:88], v[129:130]
	v_fma_f64 v[129:130], v[48:49], s[4:5], v[85:86]
	v_add_f64 v[95:96], v[139:140], v[95:96]
	v_mul_f64 v[139:140], v[16:17], s[0:1]
	v_add_f64 v[99:100], v[109:110], v[99:100]
	v_fma_f64 v[109:110], v[8:9], s[22:23], -v[143:144]
	v_add_f64 v[89:90], v[89:90], v[137:138]
	v_fma_f64 v[133:134], v[40:41], s[4:5], v[133:134]
	v_fma_f64 v[85:86], v[48:49], s[4:5], -v[85:86]
	v_fma_f64 v[143:144], v[8:9], s[22:23], v[143:144]
	v_add_f64 v[81:82], v[81:82], v[4:5]
	v_add_f64 v[111:112], v[113:114], v[111:112]
	;; [unrolled: 1-line block ×3, first 2 shown]
	v_fma_f64 v[113:114], v[14:15], s[22:23], v[119:120]
	v_mul_f64 v[103:104], v[10:11], s[0:1]
	v_fma_f64 v[119:120], v[14:15], s[22:23], -v[119:120]
	v_add_f64 v[83:84], v[83:84], v[6:7]
	v_add_f64 v[101:102], v[115:116], v[101:102]
	v_fma_f64 v[115:116], v[36:37], s[16:17], -v[147:148]
	v_add_f64 v[135:136], v[141:142], v[135:136]
	v_fma_f64 v[141:142], v[38:39], s[16:17], v[123:124]
	v_fma_f64 v[147:148], v[36:37], s[16:17], v[147:148]
	v_add_f64 v[95:96], v[129:130], v[95:96]
	v_fma_f64 v[123:124], v[38:39], s[16:17], -v[123:124]
	v_mul_f64 v[129:130], v[34:35], s[28:29]
	v_add_f64 v[87:88], v[91:92], v[87:88]
	v_add_f64 v[91:92], v[109:110], v[145:146]
	v_fma_f64 v[109:110], v[12:13], s[4:5], -v[139:140]
	v_mul_f64 v[145:146], v[52:53], s[24:25]
	v_add_f64 v[89:90], v[133:134], v[89:90]
	v_mul_f64 v[133:134], v[46:47], s[6:7]
	v_add_f64 v[4:5], v[143:144], v[97:98]
	v_fma_f64 v[97:98], v[12:13], s[4:5], v[139:140]
	v_add_f64 v[113:114], v[113:114], v[127:128]
	v_mul_f64 v[127:128], v[18:19], s[24:25]
	v_fma_f64 v[137:138], v[56:57], s[4:5], v[103:104]
	v_add_f64 v[119:120], v[119:120], v[131:132]
	v_fma_f64 v[103:104], v[56:57], s[4:5], -v[103:104]
	v_mul_f64 v[131:132], v[46:47], s[26:27]
	v_mul_f64 v[139:140], v[10:11], s[6:7]
	v_add_f64 v[99:100], v[115:116], v[99:100]
	v_mul_f64 v[34:35], v[34:35], s[0:1]
	v_add_f64 v[111:112], v[141:142], v[111:112]
	v_add_f64 v[93:94], v[147:148], v[93:94]
	v_mul_f64 v[141:142], v[32:33], s[28:29]
	v_mul_f64 v[147:148], v[16:17], s[6:7]
	v_fma_f64 v[115:116], v[8:9], s[16:17], -v[129:130]
	v_add_f64 v[101:102], v[123:124], v[101:102]
	v_mul_f64 v[123:124], v[50:51], s[6:7]
	v_add_f64 v[91:92], v[109:110], v[91:92]
	v_add_f64 v[85:86], v[85:86], v[87:88]
	v_mul_f64 v[87:88], v[50:51], s[26:27]
	v_mul_f64 v[32:33], v[32:33], s[0:1]
	v_fma_f64 v[129:130], v[8:9], s[16:17], v[129:130]
	v_add_f64 v[4:5], v[97:98], v[4:5]
	v_mul_f64 v[16:17], v[16:17], s[20:21]
	v_fma_f64 v[109:110], v[40:41], s[16:17], -v[127:128]
	v_add_f64 v[113:114], v[137:138], v[113:114]
	v_fma_f64 v[137:138], v[48:49], s[16:17], v[145:146]
	v_add_f64 v[103:104], v[103:104], v[119:120]
	v_fma_f64 v[119:120], v[38:39], s[14:15], v[131:132]
	v_fma_f64 v[127:128], v[40:41], s[16:17], v[127:128]
	v_fma_f64 v[145:146], v[48:49], s[16:17], -v[145:146]
	v_mul_f64 v[10:11], v[10:11], s[20:21]
	s_mov_b32 s7, 0x3fea55e2
	v_mul_f64 v[143:144], v[18:19], s[26:27]
	v_mul_f64 v[18:19], v[18:19], s[6:7]
	v_fma_f64 v[131:132], v[38:39], s[14:15], -v[131:132]
	v_add_f64 v[6:7], v[115:116], v[121:122]
	v_fma_f64 v[115:116], v[14:15], s[16:17], v[141:142]
	v_fma_f64 v[121:122], v[12:13], s[10:11], -v[147:148]
	v_fma_f64 v[97:98], v[36:37], s[14:15], -v[87:88]
	v_fma_f64 v[87:88], v[36:37], s[14:15], v[87:88]
	v_add_f64 v[91:92], v[109:110], v[91:92]
	v_fma_f64 v[109:110], v[36:37], s[10:11], -v[123:124]
	v_add_f64 v[113:114], v[137:138], v[113:114]
	v_fma_f64 v[137:138], v[38:39], s[10:11], v[133:134]
	v_fma_f64 v[123:124], v[36:37], s[10:11], v[123:124]
	v_add_f64 v[4:5], v[127:128], v[4:5]
	v_mul_f64 v[127:128], v[52:53], s[26:27]
	v_mul_f64 v[52:53], v[52:53], s[6:7]
	v_fma_f64 v[133:134], v[38:39], s[10:11], -v[133:134]
	v_add_f64 v[115:116], v[115:116], v[151:152]
	v_add_f64 v[6:7], v[121:122], v[6:7]
	v_fma_f64 v[121:122], v[56:57], s[10:11], v[139:140]
	v_fma_f64 v[151:152], v[40:41], s[14:15], -v[143:144]
	v_add_f64 v[91:92], v[97:98], v[91:92]
	v_add_f64 v[109:110], v[109:110], v[135:136]
	v_fma_f64 v[135:136], v[14:15], s[16:17], -v[141:142]
	v_fma_f64 v[141:142], v[8:9], s[4:5], -v[34:35]
	v_add_f64 v[95:96], v[137:138], v[95:96]
	v_fma_f64 v[137:138], v[14:15], s[4:5], v[32:33]
	v_fma_f64 v[34:35], v[8:9], s[4:5], v[34:35]
	v_fma_f64 v[32:33], v[14:15], s[4:5], -v[32:33]
	v_fma_f64 v[14:15], v[14:15], s[10:11], -v[26:27]
	v_fma_f64 v[8:9], v[8:9], s[10:11], v[24:25]
	v_add_f64 v[97:98], v[119:120], v[113:114]
	v_add_f64 v[24:25], v[145:146], v[103:104]
	;; [unrolled: 1-line block ×3, first 2 shown]
	v_mul_f64 v[26:27], v[44:45], s[0:1]
	v_fma_f64 v[125:126], v[12:13], s[10:11], v[147:148]
	v_add_f64 v[103:104], v[121:122], v[115:116]
	v_fma_f64 v[129:130], v[12:13], s[22:23], -v[16:17]
	v_fma_f64 v[16:17], v[12:13], s[22:23], v[16:17]
	v_fma_f64 v[12:13], v[12:13], s[16:17], v[73:74]
	v_mul_f64 v[119:120], v[42:43], s[0:1]
	v_add_f64 v[89:90], v[123:124], v[89:90]
	v_mul_f64 v[123:124], v[44:45], s[20:21]
	v_mul_f64 v[73:74], v[42:43], s[20:21]
	v_add_f64 v[6:7], v[151:152], v[6:7]
	v_add_f64 v[115:116], v[135:136], v[117:118]
	;; [unrolled: 1-line block ×6, first 2 shown]
	v_fma_f64 v[34:35], v[56:57], s[10:11], -v[139:140]
	v_add_f64 v[2:3], v[32:33], v[2:3]
	v_fma_f64 v[32:33], v[56:57], s[22:23], v[10:11]
	v_fma_f64 v[10:11], v[56:57], s[22:23], -v[10:11]
	v_add_f64 v[14:15], v[14:15], v[107:108]
	v_fma_f64 v[56:57], v[56:57], s[16:17], -v[71:72]
	v_add_f64 v[8:9], v[8:9], v[105:106]
	v_fma_f64 v[105:106], v[28:29], s[4:5], -v[26:27]
	v_fma_f64 v[107:108], v[28:29], s[4:5], v[26:27]
	v_add_f64 v[26:27], v[125:126], v[113:114]
	v_fma_f64 v[125:126], v[48:49], s[14:15], v[127:128]
	v_fma_f64 v[127:128], v[48:49], s[14:15], -v[127:128]
	v_fma_f64 v[71:72], v[30:31], s[4:5], v[119:120]
	v_fma_f64 v[119:120], v[30:31], s[4:5], -v[119:120]
	v_fma_f64 v[113:114], v[28:29], s[22:23], -v[123:124]
	v_fma_f64 v[123:124], v[28:29], s[22:23], v[123:124]
	v_add_f64 v[117:118], v[129:130], v[117:118]
	v_fma_f64 v[129:130], v[40:41], s[14:15], v[143:144]
	v_add_f64 v[0:1], v[16:17], v[0:1]
	v_add_f64 v[34:35], v[34:35], v[115:116]
	v_mul_f64 v[16:17], v[46:47], s[0:1]
	v_add_f64 v[32:33], v[32:33], v[121:122]
	v_mul_f64 v[121:122], v[50:51], s[0:1]
	v_add_f64 v[2:3], v[10:11], v[2:3]
	v_fma_f64 v[10:11], v[40:41], s[10:11], -v[18:19]
	v_add_f64 v[14:15], v[56:57], v[14:15]
	v_fma_f64 v[56:57], v[48:49], s[10:11], v[52:53]
	v_mul_f64 v[50:51], v[50:51], s[12:13]
	v_fma_f64 v[18:19], v[40:41], s[10:11], v[18:19]
	v_mul_f64 v[46:47], v[46:47], s[12:13]
	v_fma_f64 v[52:53], v[48:49], s[10:11], -v[52:53]
	v_add_f64 v[8:9], v[12:13], v[8:9]
	v_fma_f64 v[40:41], v[40:41], s[18:19], v[58:59]
	v_fma_f64 v[48:49], v[48:49], s[18:19], -v[60:61]
	v_mul_f64 v[115:116], v[44:45], s[6:7]
	v_mul_f64 v[60:61], v[42:43], s[6:7]
	v_add_f64 v[103:104], v[125:126], v[103:104]
	v_fma_f64 v[12:13], v[30:31], s[22:23], v[73:74]
	v_add_f64 v[26:27], v[129:130], v[26:27]
	v_fma_f64 v[73:74], v[30:31], s[22:23], -v[73:74]
	v_cmp_gt_u32_e64 s0, 5, v64
	v_add_f64 v[34:35], v[127:128], v[34:35]
	v_fma_f64 v[129:130], v[38:39], s[4:5], v[16:17]
	v_mul_f64 v[127:128], v[44:45], s[12:13]
	v_fma_f64 v[125:126], v[36:37], s[4:5], -v[121:122]
	v_fma_f64 v[121:122], v[36:37], s[4:5], v[121:122]
	v_add_f64 v[10:11], v[10:11], v[117:118]
	v_mul_f64 v[117:118], v[42:43], s[12:13]
	v_add_f64 v[32:33], v[56:57], v[32:33]
	v_fma_f64 v[56:57], v[36:37], s[18:19], -v[50:51]
	v_add_f64 v[0:1], v[18:19], v[0:1]
	v_fma_f64 v[18:19], v[38:39], s[18:19], v[46:47]
	v_mul_f64 v[44:45], v[44:45], s[28:29]
	v_mul_f64 v[42:43], v[42:43], s[28:29]
	v_add_f64 v[2:3], v[52:53], v[2:3]
	v_fma_f64 v[50:51], v[36:37], s[18:19], v[50:51]
	v_fma_f64 v[46:47], v[38:39], s[18:19], -v[46:47]
	v_fma_f64 v[16:17], v[38:39], s[4:5], -v[16:17]
	v_add_f64 v[8:9], v[40:41], v[8:9]
	v_add_f64 v[14:15], v[48:49], v[14:15]
	v_fma_f64 v[36:37], v[36:37], s[22:23], v[62:63]
	v_fma_f64 v[38:39], v[38:39], s[22:23], -v[75:76]
	v_fma_f64 v[58:59], v[28:29], s[10:11], -v[115:116]
	v_fma_f64 v[52:53], v[30:31], s[10:11], v[60:61]
	v_add_f64 v[40:41], v[87:88], v[4:5]
	v_add_f64 v[75:76], v[129:130], v[103:104]
	;; [unrolled: 1-line block ×3, first 2 shown]
	v_fma_f64 v[87:88], v[28:29], s[18:19], -v[127:128]
	v_fma_f64 v[62:63], v[28:29], s[10:11], v[115:116]
	v_fma_f64 v[103:104], v[30:31], s[18:19], v[117:118]
	v_add_f64 v[115:116], v[121:122], v[26:27]
	v_fma_f64 v[121:122], v[28:29], s[18:19], v[127:128]
	v_add_f64 v[56:57], v[56:57], v[10:11]
	v_add_f64 v[18:19], v[18:19], v[32:33]
	v_fma_f64 v[125:126], v[28:29], s[16:17], -v[44:45]
	v_fma_f64 v[127:128], v[30:31], s[16:17], v[42:43]
	v_fma_f64 v[44:45], v[28:29], s[16:17], v[44:45]
	v_add_f64 v[50:51], v[50:51], v[0:1]
	v_add_f64 v[2:3], v[46:47], v[2:3]
	v_fma_f64 v[46:47], v[30:31], s[16:17], -v[42:43]
	v_add_f64 v[16:17], v[16:17], v[34:35]
	v_fma_f64 v[117:118], v[30:31], s[18:19], -v[117:118]
	;; [unrolled: 2-line block ×3, first 2 shown]
	v_add_f64 v[129:130], v[36:37], v[8:9]
	v_add_f64 v[131:132], v[38:39], v[14:15]
	;; [unrolled: 1-line block ×24, first 2 shown]
	v_mad_u32_u24 v48, 0xd0, v64, v78
	ds_write_b128 v48, v[81:84]
	ds_write_b128 v48, v[20:23] offset:16
	ds_write_b128 v48, v[24:27] offset:32
	ds_write_b128 v48, v[28:31] offset:48
	ds_write_b128 v48, v[32:35] offset:64
	ds_write_b128 v48, v[36:39] offset:80
	ds_write_b128 v48, v[40:43] offset:96
	ds_write_b128 v48, v[44:47] offset:112
	ds_write_b128 v48, v[12:15] offset:128
	ds_write_b128 v48, v[0:3] offset:144
	ds_write_b128 v48, v[4:7] offset:160
	ds_write_b128 v48, v[8:11] offset:176
	ds_write_b128 v48, v[16:19] offset:192
	s_waitcnt lgkmcnt(0)
	s_barrier
	buffer_gl0_inv
	ds_read_b128 v[32:35], v77
	ds_read_b128 v[56:59], v80 offset:208
	ds_read_b128 v[48:51], v80 offset:416
	;; [unrolled: 1-line block ×7, first 2 shown]
	v_lshlrev_b32_e32 v69, 4, v68
                                        ; implicit-def: $vgpr26_vgpr27
                                        ; implicit-def: $vgpr30_vgpr31
                                        ; implicit-def: $vgpr22_vgpr23
	s_and_saveexec_b32 s1, s0
	s_cbranch_execz .LBB0_15
; %bb.14:
	v_add3_u32 v12, 0, v69, v79
	ds_read_b128 v[0:3], v80 offset:336
	ds_read_b128 v[4:7], v80 offset:544
	;; [unrolled: 1-line block ×6, first 2 shown]
	ds_read_b128 v[12:15], v12
	ds_read_b128 v[28:31], v80 offset:1584
.LBB0_15:
	s_or_b32 exec_lo, exec_lo, s1
	v_mul_u32_u24_e32 v70, 7, v64
	s_mov_b32 s4, 0x667f3bcd
	s_mov_b32 s5, 0xbfe6a09e
	s_mov_b32 s7, 0x3fe6a09e
	s_mov_b32 s6, s4
	v_lshlrev_b32_e32 v74, 4, v70
	v_cmp_gt_u32_e64 s1, 13, v68
	s_clause 0x6
	global_load_dwordx4 v[70:73], v74, s[8:9]
	global_load_dwordx4 v[81:84], v74, s[8:9] offset:16
	global_load_dwordx4 v[85:88], v74, s[8:9] offset:48
	;; [unrolled: 1-line block ×6, first 2 shown]
	s_waitcnt vmcnt(0) lgkmcnt(0)
	s_barrier
	buffer_gl0_inv
	v_mul_f64 v[74:75], v[58:59], v[72:73]
	v_mul_f64 v[72:73], v[56:57], v[72:73]
	;; [unrolled: 1-line block ×14, first 2 shown]
	v_fma_f64 v[56:57], v[56:57], v[70:71], -v[74:75]
	v_fma_f64 v[58:59], v[58:59], v[70:71], v[72:73]
	v_fma_f64 v[48:49], v[48:49], v[81:82], -v[105:106]
	v_fma_f64 v[50:51], v[50:51], v[81:82], v[83:84]
	;; [unrolled: 2-line block ×7, first 2 shown]
	v_add_f64 v[52:53], v[32:33], -v[52:53]
	v_add_f64 v[54:55], v[34:35], -v[54:55]
	;; [unrolled: 1-line block ×8, first 2 shown]
	v_fma_f64 v[32:33], v[32:33], 2.0, -v[52:53]
	v_fma_f64 v[34:35], v[34:35], 2.0, -v[54:55]
	;; [unrolled: 1-line block ×6, first 2 shown]
	v_add_f64 v[62:63], v[52:53], -v[62:63]
	v_add_f64 v[60:61], v[54:55], v[60:61]
	v_fma_f64 v[36:37], v[36:37], 2.0, -v[44:45]
	v_fma_f64 v[38:39], v[38:39], 2.0, -v[46:47]
	v_add_f64 v[46:47], v[40:41], -v[46:47]
	v_add_f64 v[44:45], v[42:43], v[44:45]
	v_add_f64 v[48:49], v[32:33], -v[48:49]
	v_add_f64 v[50:51], v[34:35], -v[50:51]
	v_fma_f64 v[70:71], v[52:53], 2.0, -v[62:63]
	v_fma_f64 v[72:73], v[54:55], 2.0, -v[60:61]
	v_add_f64 v[36:37], v[56:57], -v[36:37]
	v_add_f64 v[38:39], v[58:59], -v[38:39]
	v_fma_f64 v[52:53], v[40:41], 2.0, -v[46:47]
	v_fma_f64 v[54:55], v[42:43], 2.0, -v[44:45]
	v_fma_f64 v[40:41], v[46:47], s[6:7], v[62:63]
	v_fma_f64 v[42:43], v[44:45], s[6:7], v[60:61]
	v_fma_f64 v[74:75], v[32:33], 2.0, -v[48:49]
	v_fma_f64 v[81:82], v[34:35], 2.0, -v[50:51]
	;; [unrolled: 1-line block ×4, first 2 shown]
	v_fma_f64 v[83:84], v[52:53], s[4:5], v[70:71]
	v_fma_f64 v[85:86], v[54:55], s[4:5], v[72:73]
	v_add_f64 v[32:33], v[48:49], -v[38:39]
	v_add_f64 v[34:35], v[50:51], v[36:37]
	v_fma_f64 v[36:37], v[44:45], s[4:5], v[40:41]
	v_fma_f64 v[38:39], v[46:47], s[6:7], v[42:43]
	v_add_f64 v[40:41], v[74:75], -v[56:57]
	v_add_f64 v[42:43], v[81:82], -v[58:59]
	v_fma_f64 v[44:45], v[54:55], s[4:5], v[83:84]
	v_fma_f64 v[46:47], v[52:53], s[6:7], v[85:86]
	v_fma_f64 v[48:49], v[48:49], 2.0, -v[32:33]
	v_fma_f64 v[50:51], v[50:51], 2.0, -v[34:35]
	;; [unrolled: 1-line block ×8, first 2 shown]
	ds_write_b128 v80, v[32:35] offset:1248
	ds_write_b128 v80, v[48:51] offset:416
	;; [unrolled: 1-line block ×5, first 2 shown]
	ds_write_b128 v80, v[56:59]
	ds_write_b128 v80, v[60:63] offset:208
	ds_write_b128 v80, v[36:39] offset:1456
	s_and_saveexec_b32 s10, s0
	s_cbranch_execz .LBB0_17
; %bb.16:
	v_add_nc_u32_e32 v32, -5, v64
	v_mov_b32_e32 v33, 0
	v_cndmask_b32_e64 v32, v32, v68, s1
	v_mul_i32_i24_e32 v32, 7, v32
	v_lshlrev_b64 v[32:33], 4, v[32:33]
	v_add_co_u32 v56, s0, s8, v32
	v_add_co_ci_u32_e64 v57, s0, s9, v33, s0
	s_clause 0x6
	global_load_dwordx4 v[32:35], v[56:57], off offset:16
	global_load_dwordx4 v[36:39], v[56:57], off offset:80
	;; [unrolled: 1-line block ×3, first 2 shown]
	global_load_dwordx4 v[44:47], v[56:57], off
	global_load_dwordx4 v[48:51], v[56:57], off offset:64
	global_load_dwordx4 v[52:55], v[56:57], off offset:32
	;; [unrolled: 1-line block ×3, first 2 shown]
	s_waitcnt vmcnt(6)
	v_mul_f64 v[60:61], v[6:7], v[34:35]
	s_waitcnt vmcnt(5)
	v_mul_f64 v[62:63], v[26:27], v[38:39]
	;; [unrolled: 2-line block ×4, first 2 shown]
	v_mul_f64 v[46:47], v[0:1], v[46:47]
	s_waitcnt vmcnt(2)
	v_mul_f64 v[74:75], v[20:21], v[50:51]
	s_waitcnt vmcnt(1)
	;; [unrolled: 2-line block ×3, first 2 shown]
	v_mul_f64 v[83:84], v[30:31], v[58:59]
	v_mul_f64 v[34:35], v[4:5], v[34:35]
	;; [unrolled: 1-line block ×7, first 2 shown]
	v_fma_f64 v[4:5], v[4:5], v[32:33], -v[60:61]
	v_fma_f64 v[24:25], v[24:25], v[36:37], -v[62:63]
	v_fma_f64 v[18:19], v[18:19], v[40:41], v[70:71]
	v_fma_f64 v[0:1], v[0:1], v[44:45], -v[72:73]
	v_fma_f64 v[2:3], v[2:3], v[44:45], v[46:47]
	v_fma_f64 v[22:23], v[22:23], v[48:49], v[74:75]
	v_fma_f64 v[8:9], v[8:9], v[52:53], -v[81:82]
	v_fma_f64 v[28:29], v[28:29], v[56:57], -v[83:84]
	v_fma_f64 v[6:7], v[6:7], v[32:33], v[34:35]
	v_fma_f64 v[26:27], v[26:27], v[36:37], v[38:39]
	v_fma_f64 v[20:21], v[20:21], v[48:49], -v[50:51]
	v_fma_f64 v[16:17], v[16:17], v[40:41], -v[42:43]
	v_fma_f64 v[10:11], v[10:11], v[52:53], v[54:55]
	v_fma_f64 v[30:31], v[30:31], v[56:57], v[58:59]
	v_add_f64 v[24:25], v[4:5], -v[24:25]
	v_add_f64 v[18:19], v[14:15], -v[18:19]
	;; [unrolled: 1-line block ×8, first 2 shown]
	v_fma_f64 v[4:5], v[4:5], 2.0, -v[24:25]
	v_add_f64 v[32:33], v[18:19], v[24:25]
	v_fma_f64 v[14:15], v[14:15], 2.0, -v[18:19]
	v_fma_f64 v[2:3], v[2:3], 2.0, -v[22:23]
	v_add_f64 v[34:35], v[22:23], v[28:29]
	v_fma_f64 v[8:9], v[8:9], 2.0, -v[28:29]
	v_fma_f64 v[6:7], v[6:7], 2.0, -v[26:27]
	;; [unrolled: 1-line block ×4, first 2 shown]
	v_add_f64 v[36:37], v[16:17], -v[26:27]
	v_fma_f64 v[10:11], v[10:11], 2.0, -v[30:31]
	v_add_f64 v[24:25], v[20:21], -v[30:31]
	v_fma_f64 v[28:29], v[18:19], 2.0, -v[32:33]
	v_fma_f64 v[18:19], v[22:23], 2.0, -v[34:35]
	v_add_f64 v[26:27], v[14:15], -v[6:7]
	v_add_f64 v[6:7], v[0:1], -v[8:9]
	;; [unrolled: 1-line block ×3, first 2 shown]
	v_fma_f64 v[16:17], v[16:17], 2.0, -v[36:37]
	v_add_f64 v[22:23], v[2:3], -v[10:11]
	v_fma_f64 v[4:5], v[20:21], 2.0, -v[24:25]
	v_fma_f64 v[8:9], v[34:35], s[6:7], v[32:33]
	v_fma_f64 v[42:43], v[24:25], s[6:7], v[36:37]
	;; [unrolled: 1-line block ×3, first 2 shown]
	v_fma_f64 v[20:21], v[14:15], 2.0, -v[26:27]
	v_fma_f64 v[0:1], v[0:1], 2.0, -v[6:7]
	;; [unrolled: 1-line block ×3, first 2 shown]
	v_add_f64 v[6:7], v[26:27], v[6:7]
	v_fma_f64 v[14:15], v[2:3], 2.0, -v[22:23]
	v_fma_f64 v[30:31], v[4:5], s[4:5], v[16:17]
	v_fma_f64 v[2:3], v[24:25], s[6:7], v[8:9]
	;; [unrolled: 1-line block ×3, first 2 shown]
	v_add_f64 v[4:5], v[38:39], -v[22:23]
	v_add_f64 v[12:13], v[40:41], -v[0:1]
	v_fma_f64 v[0:1], v[34:35], s[4:5], v[42:43]
	v_add_f64 v[14:15], v[20:21], -v[14:15]
	v_fma_f64 v[8:9], v[18:19], s[4:5], v[30:31]
	v_fma_f64 v[22:23], v[26:27], 2.0, -v[6:7]
	v_fma_f64 v[18:19], v[32:33], 2.0, -v[2:3]
	v_add3_u32 v32, 0, v69, v79
	v_fma_f64 v[26:27], v[28:29], 2.0, -v[10:11]
	v_fma_f64 v[28:29], v[40:41], 2.0, -v[12:13]
	;; [unrolled: 1-line block ×6, first 2 shown]
	ds_write_b128 v32, v[28:31]
	ds_write_b128 v80, v[24:27] offset:336
	ds_write_b128 v80, v[20:23] offset:544
	;; [unrolled: 1-line block ×7, first 2 shown]
.LBB0_17:
	s_or_b32 exec_lo, exec_lo, s10
	s_waitcnt lgkmcnt(0)
	s_barrier
	buffer_gl0_inv
	ds_read_b128 v[4:7], v77
	v_sub_nc_u32_e32 v12, v78, v65
	v_cmp_ne_u32_e64 s0, 0, v64
                                        ; implicit-def: $vgpr2_vgpr3
                                        ; implicit-def: $vgpr8_vgpr9
                                        ; implicit-def: $vgpr10_vgpr11
	s_and_saveexec_b32 s1, s0
	s_xor_b32 s0, exec_lo, s1
	s_cbranch_execz .LBB0_19
; %bb.18:
	global_load_dwordx4 v[13:16], v65, s[8:9] offset:1456
	ds_read_b128 v[0:3], v12 offset:1664
	v_mov_b32_e32 v65, 0
	s_waitcnt lgkmcnt(0)
	v_add_f64 v[8:9], v[4:5], -v[0:1]
	v_add_f64 v[10:11], v[6:7], v[2:3]
	v_add_f64 v[2:3], v[6:7], -v[2:3]
	v_add_f64 v[0:1], v[4:5], v[0:1]
	v_mul_f64 v[6:7], v[8:9], 0.5
	v_mul_f64 v[4:5], v[10:11], 0.5
	;; [unrolled: 1-line block ×3, first 2 shown]
	s_waitcnt vmcnt(0)
	v_mul_f64 v[8:9], v[6:7], v[15:16]
	v_fma_f64 v[10:11], v[4:5], v[15:16], v[2:3]
	v_fma_f64 v[2:3], v[4:5], v[15:16], -v[2:3]
	v_fma_f64 v[17:18], v[0:1], 0.5, v[8:9]
	v_fma_f64 v[0:1], v[0:1], 0.5, -v[8:9]
	v_fma_f64 v[8:9], -v[13:14], v[6:7], v[10:11]
	v_mov_b32_e32 v10, v64
	v_fma_f64 v[2:3], -v[13:14], v[6:7], v[2:3]
	v_mov_b32_e32 v11, v65
	v_fma_f64 v[15:16], v[4:5], v[13:14], v[17:18]
	v_fma_f64 v[0:1], -v[4:5], v[13:14], v[0:1]
                                        ; implicit-def: $vgpr4_vgpr5
	ds_write_b64 v77, v[15:16]
.LBB0_19:
	s_andn2_saveexec_b32 s0, s0
	s_cbranch_execz .LBB0_21
; %bb.20:
	ds_read_b64 v[13:14], v78 offset:840
	s_waitcnt lgkmcnt(1)
	v_add_f64 v[15:16], v[4:5], v[6:7]
	v_add_f64 v[0:1], v[4:5], -v[6:7]
	v_mov_b32_e32 v8, 0
	v_mov_b32_e32 v9, 0
	;; [unrolled: 1-line block ×6, first 2 shown]
	s_waitcnt lgkmcnt(0)
	v_xor_b32_e32 v14, 0x80000000, v14
	ds_write_b64 v77, v[15:16]
	ds_write_b64 v78, v[13:14] offset:840
.LBB0_21:
	s_or_b32 exec_lo, exec_lo, s0
	v_mov_b32_e32 v69, 0
	v_lshl_add_u32 v31, v68, 4, v78
	s_waitcnt lgkmcnt(0)
	v_lshlrev_b64 v[4:5], 4, v[68:69]
	v_add_co_u32 v4, s0, s8, v4
	v_add_co_ci_u32_e64 v5, s0, s9, v5, s0
	s_add_u32 s0, s8, 0x5b0
	s_addc_u32 s1, s9, 0
	global_load_dwordx4 v[13:16], v[4:5], off offset:1456
	v_lshlrev_b64 v[4:5], 4, v[10:11]
	v_add_co_u32 v6, s0, s0, v4
	v_add_co_ci_u32_e64 v7, s0, s1, v5, s0
	s_mov_b32 s1, exec_lo
	global_load_dwordx4 v[17:20], v[6:7], off offset:256
	ds_write_b64 v77, v[8:9] offset:8
	ds_write_b128 v12, v[0:3] offset:1664
	ds_read_b128 v[0:3], v12 offset:1536
	ds_read_b128 v[8:11], v31
	global_load_dwordx4 v[21:24], v[6:7], off offset:384
	s_waitcnt lgkmcnt(0)
	v_add_f64 v[25:26], v[8:9], -v[0:1]
	v_add_f64 v[27:28], v[10:11], v[2:3]
	v_add_f64 v[2:3], v[10:11], -v[2:3]
	v_add_f64 v[0:1], v[8:9], v[0:1]
	v_mul_f64 v[10:11], v[25:26], 0.5
	v_mul_f64 v[25:26], v[27:28], 0.5
	v_mul_f64 v[2:3], v[2:3], 0.5
	s_waitcnt vmcnt(2)
	v_mul_f64 v[8:9], v[10:11], v[15:16]
	v_fma_f64 v[27:28], v[25:26], v[15:16], v[2:3]
	v_fma_f64 v[15:16], v[25:26], v[15:16], -v[2:3]
	v_fma_f64 v[29:30], v[0:1], 0.5, v[8:9]
	v_fma_f64 v[8:9], v[0:1], 0.5, -v[8:9]
	v_fma_f64 v[2:3], -v[13:14], v[10:11], v[27:28]
	v_fma_f64 v[10:11], -v[13:14], v[10:11], v[15:16]
	v_fma_f64 v[0:1], v[25:26], v[13:14], v[29:30]
	v_fma_f64 v[8:9], -v[25:26], v[13:14], v[8:9]
	ds_write_b128 v31, v[0:3]
	ds_write_b128 v12, v[8:11] offset:1536
	ds_read_b128 v[0:3], v77 offset:256
	ds_read_b128 v[8:11], v12 offset:1408
	global_load_dwordx4 v[13:16], v[6:7], off offset:512
	s_waitcnt lgkmcnt(0)
	v_add_f64 v[25:26], v[0:1], -v[8:9]
	v_add_f64 v[27:28], v[2:3], v[10:11]
	v_add_f64 v[2:3], v[2:3], -v[10:11]
	v_add_f64 v[0:1], v[0:1], v[8:9]
	v_mul_f64 v[10:11], v[25:26], 0.5
	v_mul_f64 v[25:26], v[27:28], 0.5
	;; [unrolled: 1-line block ×3, first 2 shown]
	s_waitcnt vmcnt(2)
	v_mul_f64 v[8:9], v[10:11], v[19:20]
	v_fma_f64 v[27:28], v[25:26], v[19:20], v[2:3]
	v_fma_f64 v[19:20], v[25:26], v[19:20], -v[2:3]
	v_fma_f64 v[29:30], v[0:1], 0.5, v[8:9]
	v_fma_f64 v[8:9], v[0:1], 0.5, -v[8:9]
	v_fma_f64 v[2:3], -v[17:18], v[10:11], v[27:28]
	v_fma_f64 v[10:11], -v[17:18], v[10:11], v[19:20]
	v_fma_f64 v[0:1], v[25:26], v[17:18], v[29:30]
	v_fma_f64 v[8:9], -v[25:26], v[17:18], v[8:9]
	ds_write_b128 v77, v[0:3] offset:256
	ds_write_b128 v12, v[8:11] offset:1408
	ds_read_b128 v[0:3], v77 offset:384
	ds_read_b128 v[8:11], v12 offset:1280
	global_load_dwordx4 v[17:20], v[6:7], off offset:640
	s_waitcnt lgkmcnt(0)
	v_add_f64 v[25:26], v[0:1], -v[8:9]
	v_add_f64 v[27:28], v[2:3], v[10:11]
	v_add_f64 v[2:3], v[2:3], -v[10:11]
	v_add_f64 v[0:1], v[0:1], v[8:9]
	v_mul_f64 v[10:11], v[25:26], 0.5
	v_mul_f64 v[25:26], v[27:28], 0.5
	;; [unrolled: 1-line block ×3, first 2 shown]
	s_waitcnt vmcnt(2)
	v_mul_f64 v[8:9], v[10:11], v[23:24]
	v_fma_f64 v[27:28], v[25:26], v[23:24], v[2:3]
	v_fma_f64 v[23:24], v[25:26], v[23:24], -v[2:3]
	v_fma_f64 v[29:30], v[0:1], 0.5, v[8:9]
	v_fma_f64 v[8:9], v[0:1], 0.5, -v[8:9]
	v_fma_f64 v[2:3], -v[21:22], v[10:11], v[27:28]
	v_fma_f64 v[10:11], -v[21:22], v[10:11], v[23:24]
	v_fma_f64 v[0:1], v[25:26], v[21:22], v[29:30]
	v_fma_f64 v[8:9], -v[25:26], v[21:22], v[8:9]
	ds_write_b128 v77, v[0:3] offset:384
	ds_write_b128 v12, v[8:11] offset:1280
	ds_read_b128 v[0:3], v77 offset:512
	ds_read_b128 v[8:11], v12 offset:1152
	s_waitcnt lgkmcnt(0)
	v_add_f64 v[21:22], v[0:1], -v[8:9]
	v_add_f64 v[23:24], v[2:3], v[10:11]
	v_add_f64 v[2:3], v[2:3], -v[10:11]
	v_add_f64 v[0:1], v[0:1], v[8:9]
	v_mul_f64 v[10:11], v[21:22], 0.5
	v_mul_f64 v[21:22], v[23:24], 0.5
	;; [unrolled: 1-line block ×3, first 2 shown]
	s_waitcnt vmcnt(1)
	v_mul_f64 v[8:9], v[10:11], v[15:16]
	v_fma_f64 v[23:24], v[21:22], v[15:16], v[2:3]
	v_fma_f64 v[15:16], v[21:22], v[15:16], -v[2:3]
	v_fma_f64 v[25:26], v[0:1], 0.5, v[8:9]
	v_fma_f64 v[8:9], v[0:1], 0.5, -v[8:9]
	v_fma_f64 v[2:3], -v[13:14], v[10:11], v[23:24]
	v_fma_f64 v[10:11], -v[13:14], v[10:11], v[15:16]
	v_fma_f64 v[0:1], v[21:22], v[13:14], v[25:26]
	v_fma_f64 v[8:9], -v[21:22], v[13:14], v[8:9]
	ds_write_b128 v77, v[0:3] offset:512
	ds_write_b128 v12, v[8:11] offset:1152
	ds_read_b128 v[0:3], v77 offset:640
	ds_read_b128 v[8:11], v12 offset:1024
	s_waitcnt lgkmcnt(0)
	v_add_f64 v[13:14], v[0:1], -v[8:9]
	v_add_f64 v[15:16], v[2:3], v[10:11]
	v_add_f64 v[2:3], v[2:3], -v[10:11]
	v_add_f64 v[0:1], v[0:1], v[8:9]
	v_mul_f64 v[10:11], v[13:14], 0.5
	v_mul_f64 v[13:14], v[15:16], 0.5
	;; [unrolled: 1-line block ×3, first 2 shown]
	s_waitcnt vmcnt(0)
	v_mul_f64 v[8:9], v[10:11], v[19:20]
	v_fma_f64 v[15:16], v[13:14], v[19:20], v[2:3]
	v_fma_f64 v[19:20], v[13:14], v[19:20], -v[2:3]
	v_fma_f64 v[21:22], v[0:1], 0.5, v[8:9]
	v_fma_f64 v[8:9], v[0:1], 0.5, -v[8:9]
	v_fma_f64 v[2:3], -v[17:18], v[10:11], v[15:16]
	v_fma_f64 v[10:11], -v[17:18], v[10:11], v[19:20]
	v_fma_f64 v[0:1], v[13:14], v[17:18], v[21:22]
	v_fma_f64 v[8:9], -v[13:14], v[17:18], v[8:9]
	v_or_b32_e32 v13, 48, v64
	ds_write_b128 v77, v[0:3] offset:640
	ds_write_b128 v12, v[8:11] offset:1024
	v_cmpx_gt_u32_e32 52, v13
	s_cbranch_execz .LBB0_23
; %bb.22:
	global_load_dwordx4 v[0:3], v[6:7], off offset:768
	ds_read_b128 v[6:9], v77 offset:768
	ds_read_b128 v[13:16], v12 offset:896
	s_waitcnt lgkmcnt(0)
	v_add_f64 v[10:11], v[6:7], -v[13:14]
	v_add_f64 v[17:18], v[8:9], v[15:16]
	v_add_f64 v[8:9], v[8:9], -v[15:16]
	v_add_f64 v[6:7], v[6:7], v[13:14]
	v_mul_f64 v[10:11], v[10:11], 0.5
	v_mul_f64 v[15:16], v[17:18], 0.5
	;; [unrolled: 1-line block ×3, first 2 shown]
	s_waitcnt vmcnt(0)
	v_mul_f64 v[13:14], v[10:11], v[2:3]
	v_fma_f64 v[17:18], v[15:16], v[2:3], v[8:9]
	v_fma_f64 v[2:3], v[15:16], v[2:3], -v[8:9]
	v_fma_f64 v[19:20], v[6:7], 0.5, v[13:14]
	v_fma_f64 v[13:14], v[6:7], 0.5, -v[13:14]
	v_fma_f64 v[8:9], -v[0:1], v[10:11], v[17:18]
	v_fma_f64 v[2:3], -v[0:1], v[10:11], v[2:3]
	v_fma_f64 v[6:7], v[15:16], v[0:1], v[19:20]
	v_fma_f64 v[0:1], -v[15:16], v[0:1], v[13:14]
	ds_write_b128 v77, v[6:9] offset:768
	ds_write_b128 v12, v[0:3] offset:896
.LBB0_23:
	s_or_b32 exec_lo, exec_lo, s1
	s_waitcnt lgkmcnt(0)
	s_barrier
	buffer_gl0_inv
	s_and_saveexec_b32 s0, vcc_lo
	s_cbranch_execz .LBB0_26
; %bb.24:
	ds_read_b128 v[6:9], v77
	ds_read_b128 v[10:13], v77 offset:128
	ds_read_b128 v[14:17], v77 offset:256
	;; [unrolled: 1-line block ×12, first 2 shown]
	v_add_co_u32 v0, vcc_lo, s2, v66
	v_add_co_ci_u32_e32 v1, vcc_lo, s3, v67, vcc_lo
	v_add_co_u32 v2, vcc_lo, v0, v4
	v_add_co_ci_u32_e32 v3, vcc_lo, v1, v5, vcc_lo
	v_cmp_eq_u32_e32 vcc_lo, 7, v64
	s_waitcnt lgkmcnt(12)
	global_store_dwordx4 v[2:3], v[6:9], off
	s_waitcnt lgkmcnt(11)
	global_store_dwordx4 v[2:3], v[10:13], off offset:128
	s_waitcnt lgkmcnt(10)
	global_store_dwordx4 v[2:3], v[14:17], off offset:256
	;; [unrolled: 2-line block ×12, first 2 shown]
	s_and_b32 exec_lo, exec_lo, vcc_lo
	s_cbranch_execz .LBB0_26
; %bb.25:
	ds_read_b128 v[2:5], v77 offset:1552
	s_waitcnt lgkmcnt(0)
	global_store_dwordx4 v[0:1], v[2:5], off offset:1664
.LBB0_26:
	s_endpgm
	.section	.rodata,"a",@progbits
	.p2align	6, 0x0
	.amdhsa_kernel fft_rtc_fwd_len104_factors_13_8_wgs_64_tpt_8_halfLds_dp_ip_CI_unitstride_sbrr_R2C_dirReg
		.amdhsa_group_segment_fixed_size 0
		.amdhsa_private_segment_fixed_size 0
		.amdhsa_kernarg_size 88
		.amdhsa_user_sgpr_count 6
		.amdhsa_user_sgpr_private_segment_buffer 1
		.amdhsa_user_sgpr_dispatch_ptr 0
		.amdhsa_user_sgpr_queue_ptr 0
		.amdhsa_user_sgpr_kernarg_segment_ptr 1
		.amdhsa_user_sgpr_dispatch_id 0
		.amdhsa_user_sgpr_flat_scratch_init 0
		.amdhsa_user_sgpr_private_segment_size 0
		.amdhsa_wavefront_size32 1
		.amdhsa_uses_dynamic_stack 0
		.amdhsa_system_sgpr_private_segment_wavefront_offset 0
		.amdhsa_system_sgpr_workgroup_id_x 1
		.amdhsa_system_sgpr_workgroup_id_y 0
		.amdhsa_system_sgpr_workgroup_id_z 0
		.amdhsa_system_sgpr_workgroup_info 0
		.amdhsa_system_vgpr_workitem_id 0
		.amdhsa_next_free_vgpr 159
		.amdhsa_next_free_sgpr 32
		.amdhsa_reserve_vcc 1
		.amdhsa_reserve_flat_scratch 0
		.amdhsa_float_round_mode_32 0
		.amdhsa_float_round_mode_16_64 0
		.amdhsa_float_denorm_mode_32 3
		.amdhsa_float_denorm_mode_16_64 3
		.amdhsa_dx10_clamp 1
		.amdhsa_ieee_mode 1
		.amdhsa_fp16_overflow 0
		.amdhsa_workgroup_processor_mode 1
		.amdhsa_memory_ordered 1
		.amdhsa_forward_progress 0
		.amdhsa_shared_vgpr_count 0
		.amdhsa_exception_fp_ieee_invalid_op 0
		.amdhsa_exception_fp_denorm_src 0
		.amdhsa_exception_fp_ieee_div_zero 0
		.amdhsa_exception_fp_ieee_overflow 0
		.amdhsa_exception_fp_ieee_underflow 0
		.amdhsa_exception_fp_ieee_inexact 0
		.amdhsa_exception_int_div_zero 0
	.end_amdhsa_kernel
	.text
.Lfunc_end0:
	.size	fft_rtc_fwd_len104_factors_13_8_wgs_64_tpt_8_halfLds_dp_ip_CI_unitstride_sbrr_R2C_dirReg, .Lfunc_end0-fft_rtc_fwd_len104_factors_13_8_wgs_64_tpt_8_halfLds_dp_ip_CI_unitstride_sbrr_R2C_dirReg
                                        ; -- End function
	.section	.AMDGPU.csdata,"",@progbits
; Kernel info:
; codeLenInByte = 8960
; NumSgprs: 34
; NumVgprs: 159
; ScratchSize: 0
; MemoryBound: 0
; FloatMode: 240
; IeeeMode: 1
; LDSByteSize: 0 bytes/workgroup (compile time only)
; SGPRBlocks: 4
; VGPRBlocks: 19
; NumSGPRsForWavesPerEU: 34
; NumVGPRsForWavesPerEU: 159
; Occupancy: 6
; WaveLimiterHint : 1
; COMPUTE_PGM_RSRC2:SCRATCH_EN: 0
; COMPUTE_PGM_RSRC2:USER_SGPR: 6
; COMPUTE_PGM_RSRC2:TRAP_HANDLER: 0
; COMPUTE_PGM_RSRC2:TGID_X_EN: 1
; COMPUTE_PGM_RSRC2:TGID_Y_EN: 0
; COMPUTE_PGM_RSRC2:TGID_Z_EN: 0
; COMPUTE_PGM_RSRC2:TIDIG_COMP_CNT: 0
	.text
	.p2alignl 6, 3214868480
	.fill 48, 4, 3214868480
	.type	__hip_cuid_bb0b71e4c69e8b3c,@object ; @__hip_cuid_bb0b71e4c69e8b3c
	.section	.bss,"aw",@nobits
	.globl	__hip_cuid_bb0b71e4c69e8b3c
__hip_cuid_bb0b71e4c69e8b3c:
	.byte	0                               ; 0x0
	.size	__hip_cuid_bb0b71e4c69e8b3c, 1

	.ident	"AMD clang version 19.0.0git (https://github.com/RadeonOpenCompute/llvm-project roc-6.4.0 25133 c7fe45cf4b819c5991fe208aaa96edf142730f1d)"
	.section	".note.GNU-stack","",@progbits
	.addrsig
	.addrsig_sym __hip_cuid_bb0b71e4c69e8b3c
	.amdgpu_metadata
---
amdhsa.kernels:
  - .args:
      - .actual_access:  read_only
        .address_space:  global
        .offset:         0
        .size:           8
        .value_kind:     global_buffer
      - .offset:         8
        .size:           8
        .value_kind:     by_value
      - .actual_access:  read_only
        .address_space:  global
        .offset:         16
        .size:           8
        .value_kind:     global_buffer
      - .actual_access:  read_only
        .address_space:  global
        .offset:         24
        .size:           8
        .value_kind:     global_buffer
      - .offset:         32
        .size:           8
        .value_kind:     by_value
      - .actual_access:  read_only
        .address_space:  global
        .offset:         40
        .size:           8
        .value_kind:     global_buffer
      - .actual_access:  read_only
        .address_space:  global
        .offset:         48
        .size:           8
        .value_kind:     global_buffer
      - .offset:         56
        .size:           4
        .value_kind:     by_value
      - .actual_access:  read_only
        .address_space:  global
        .offset:         64
        .size:           8
        .value_kind:     global_buffer
      - .actual_access:  read_only
        .address_space:  global
        .offset:         72
        .size:           8
        .value_kind:     global_buffer
      - .address_space:  global
        .offset:         80
        .size:           8
        .value_kind:     global_buffer
    .group_segment_fixed_size: 0
    .kernarg_segment_align: 8
    .kernarg_segment_size: 88
    .language:       OpenCL C
    .language_version:
      - 2
      - 0
    .max_flat_workgroup_size: 64
    .name:           fft_rtc_fwd_len104_factors_13_8_wgs_64_tpt_8_halfLds_dp_ip_CI_unitstride_sbrr_R2C_dirReg
    .private_segment_fixed_size: 0
    .sgpr_count:     34
    .sgpr_spill_count: 0
    .symbol:         fft_rtc_fwd_len104_factors_13_8_wgs_64_tpt_8_halfLds_dp_ip_CI_unitstride_sbrr_R2C_dirReg.kd
    .uniform_work_group_size: 1
    .uses_dynamic_stack: false
    .vgpr_count:     159
    .vgpr_spill_count: 0
    .wavefront_size: 32
    .workgroup_processor_mode: 1
amdhsa.target:   amdgcn-amd-amdhsa--gfx1030
amdhsa.version:
  - 1
  - 2
...

	.end_amdgpu_metadata
